;; amdgpu-corpus repo=ROCm/rocFFT kind=compiled arch=gfx1030 opt=O3
	.text
	.amdgcn_target "amdgcn-amd-amdhsa--gfx1030"
	.amdhsa_code_object_version 6
	.protected	bluestein_single_back_len625_dim1_sp_op_CI_CI ; -- Begin function bluestein_single_back_len625_dim1_sp_op_CI_CI
	.globl	bluestein_single_back_len625_dim1_sp_op_CI_CI
	.p2align	8
	.type	bluestein_single_back_len625_dim1_sp_op_CI_CI,@function
bluestein_single_back_len625_dim1_sp_op_CI_CI: ; @bluestein_single_back_len625_dim1_sp_op_CI_CI
; %bb.0:
	s_load_dwordx4 s[12:15], s[4:5], 0x28
	v_mul_u32_u24_e32 v1, 0x20d, v0
	v_mov_b32_e32 v25, 0
	s_mov_b32 s0, exec_lo
	v_lshrrev_b32_e32 v1, 16, v1
	v_add_nc_u32_e32 v24, s6, v1
	s_waitcnt lgkmcnt(0)
	v_cmpx_gt_u64_e64 s[12:13], v[24:25]
	s_cbranch_execz .LBB0_2
; %bb.1:
	s_clause 0x1
	s_load_dwordx4 s[0:3], s[4:5], 0x18
	s_load_dwordx4 s[8:11], s[4:5], 0x0
	v_mul_lo_u16 v1, 0x7d, v1
	v_sub_nc_u16 v18, v0, v1
	v_and_b32_e32 v35, 0xffff, v18
	v_and_b32_e32 v14, 0xff, v18
	v_lshlrev_b32_e32 v36, 3, v35
	v_mul_lo_u16 v15, 0xcd, v14
	s_waitcnt lgkmcnt(0)
	s_load_dwordx4 s[16:19], s[0:1], 0x0
	s_clause 0x2
	global_load_dwordx2 v[25:26], v36, s[8:9]
	global_load_dwordx2 v[27:28], v36, s[8:9] offset:1000
	global_load_dwordx2 v[29:30], v36, s[8:9] offset:2000
	v_add_co_u32 v38, s0, s8, v36
	v_add_co_ci_u32_e64 v39, null, s9, 0, s0
	v_add_nc_u32_e32 v37, 0x400, v36
	v_lshrrev_b16 v19, 10, v15
	s_waitcnt lgkmcnt(0)
	v_mad_u64_u32 v[0:1], null, s18, v24, 0
	v_mad_u64_u32 v[2:3], null, s16, v35, 0
	s_mul_i32 s0, s17, 0x3e8
	s_mul_hi_u32 s1, s16, 0x3e8
	s_mul_i32 s6, s16, 0x3e8
	s_add_i32 s1, s1, s0
	v_mad_u64_u32 v[4:5], null, s19, v24, v[1:2]
	v_mad_u64_u32 v[5:6], null, s17, v35, v[3:4]
	v_mov_b32_e32 v1, v4
	v_add_co_u32 v4, vcc_lo, 0x800, v38
	v_lshlrev_b64 v[0:1], 3, v[0:1]
	v_mov_b32_e32 v3, v5
	v_add_co_ci_u32_e32 v5, vcc_lo, 0, v39, vcc_lo
	v_lshlrev_b64 v[2:3], 3, v[2:3]
	v_add_co_u32 v0, vcc_lo, s14, v0
	v_add_co_ci_u32_e32 v1, vcc_lo, s15, v1, vcc_lo
	v_add_co_u32 v0, vcc_lo, v0, v2
	v_add_co_ci_u32_e32 v1, vcc_lo, v1, v3, vcc_lo
	;; [unrolled: 2-line block ×3, first 2 shown]
	global_load_dwordx2 v[0:1], v[0:1], off
	v_add_co_u32 v6, vcc_lo, v2, s6
	v_add_co_ci_u32_e32 v7, vcc_lo, s1, v3, vcc_lo
	global_load_dwordx2 v[2:3], v[2:3], off
	v_add_co_u32 v8, vcc_lo, v6, s6
	v_add_co_ci_u32_e32 v9, vcc_lo, s1, v7, vcc_lo
	;; [unrolled: 3-line block ×3, first 2 shown]
	global_load_dwordx2 v[8:9], v[8:9], off
	s_clause 0x1
	global_load_dwordx2 v[31:32], v[4:5], off offset:952
	global_load_dwordx2 v[33:34], v[4:5], off offset:1952
	global_load_dwordx2 v[4:5], v[10:11], off
	s_load_dwordx4 s[0:3], s[2:3], 0x0
	s_waitcnt vmcnt(6)
	v_mul_f32_e32 v10, v1, v26
	v_mul_f32_e32 v11, v0, v26
	s_waitcnt vmcnt(5)
	v_mul_f32_e32 v12, v3, v28
	v_mul_f32_e32 v13, v2, v28
	v_fmac_f32_e32 v10, v0, v25
	v_fma_f32 v11, v1, v25, -v11
	s_waitcnt vmcnt(4)
	v_mul_f32_e32 v0, v7, v30
	v_fmac_f32_e32 v12, v2, v27
	v_fma_f32 v13, v3, v27, -v13
	v_mul_f32_e32 v1, v6, v30
	s_waitcnt vmcnt(2)
	v_mul_f32_e32 v2, v9, v32
	v_mul_f32_e32 v3, v8, v32
	v_fmac_f32_e32 v0, v6, v29
	s_waitcnt vmcnt(0)
	v_mul_f32_e32 v6, v5, v34
	v_mul_f32_e32 v16, v4, v34
	v_fma_f32 v1, v7, v29, -v1
	v_fmac_f32_e32 v2, v8, v31
	v_fma_f32 v3, v9, v31, -v3
	v_fmac_f32_e32 v6, v4, v33
	v_fma_f32 v7, v5, v33, -v16
	ds_write2_b64 v36, v[10:11], v[12:13] offset1:125
	ds_write2_b64 v37, v[0:1], v[2:3] offset0:122 offset1:247
	ds_write_b64 v36, v[6:7] offset:4000
	s_waitcnt lgkmcnt(0)
	s_barrier
	buffer_gl0_inv
	ds_read2_b64 v[0:3], v36 offset1:125
	ds_read2_b64 v[4:7], v37 offset0:122 offset1:247
	ds_read_b64 v[8:9], v36 offset:4000
	v_mov_b32_e32 v11, 3
	v_mul_lo_u16 v12, v18, 5
	v_mul_lo_u16 v10, v19, 5
	s_waitcnt lgkmcnt(0)
	s_barrier
	buffer_gl0_inv
	v_lshlrev_b32_sdwa v40, v11, v12 dst_sel:DWORD dst_unused:UNUSED_PAD src0_sel:DWORD src1_sel:WORD_0
	v_sub_nc_u16 v10, v18, v10
	v_and_b32_e32 v20, 0xff, v10
	v_add_f32_e32 v11, v0, v2
	v_add_f32_e32 v12, v4, v6
	;; [unrolled: 1-line block ×6, first 2 shown]
	v_sub_f32_e32 v13, v3, v9
	v_sub_f32_e32 v15, v5, v7
	;; [unrolled: 1-line block ×9, first 2 shown]
	v_add_f32_e32 v4, v11, v4
	v_fma_f32 v2, -0.5, v12, v0
	v_add_f32_e32 v5, v41, v5
	v_fma_f32 v3, -0.5, v42, v1
	v_fma_f32 v0, -0.5, v21, v0
	;; [unrolled: 1-line block ×3, first 2 shown]
	v_sub_f32_e32 v17, v8, v6
	v_sub_f32_e32 v46, v9, v7
	v_add_f32_e32 v12, v22, v23
	v_add_f32_e32 v21, v4, v6
	v_fmamk_f32 v4, v13, 0x3f737871, v2
	v_add_f32_e32 v22, v5, v7
	v_fmamk_f32 v5, v43, 0xbf737871, v3
	v_sub_f32_e32 v49, v7, v9
	v_fmamk_f32 v6, v15, 0xbf737871, v0
	v_fmac_f32_e32 v0, 0x3f737871, v15
	v_fmamk_f32 v7, v44, 0x3f737871, v1
	v_fmac_f32_e32 v1, 0xbf737871, v44
	v_fmac_f32_e32 v2, 0xbf737871, v13
	;; [unrolled: 1-line block ×3, first 2 shown]
	v_add_f32_e32 v11, v16, v17
	v_add_f32_e32 v16, v45, v46
	v_fmac_f32_e32 v4, 0x3f167918, v15
	v_fmac_f32_e32 v5, 0xbf167918, v44
	v_add_f32_e32 v17, v48, v49
	v_fmac_f32_e32 v6, 0x3f167918, v13
	v_fmac_f32_e32 v0, 0xbf167918, v13
	;; [unrolled: 1-line block ×6, first 2 shown]
	v_lshlrev_b32_e32 v10, 5, v20
	v_add_f32_e32 v8, v21, v8
	v_add_f32_e32 v9, v22, v9
	v_fmac_f32_e32 v4, 0x3e9e377a, v11
	v_fmac_f32_e32 v5, 0x3e9e377a, v16
	;; [unrolled: 1-line block ×8, first 2 shown]
	ds_write2_b64 v40, v[8:9], v[4:5] offset1:1
	ds_write2_b64 v40, v[6:7], v[0:1] offset0:2 offset1:3
	ds_write_b64 v40, v[2:3] offset:32
	s_waitcnt lgkmcnt(0)
	s_barrier
	buffer_gl0_inv
	s_clause 0x1
	global_load_dwordx4 v[4:7], v10, s[10:11]
	global_load_dwordx4 v[0:3], v10, s[10:11] offset:16
	v_mul_lo_u16 v8, v14, 41
	v_mov_b32_e32 v22, 25
	v_lshrrev_b16 v42, 10, v8
	ds_read2_b64 v[8:11], v36 offset1:125
	ds_read2_b64 v[12:15], v37 offset0:122 offset1:247
	ds_read_b64 v[16:17], v36 offset:4000
	v_mul_u32_u24_sdwa v19, v19, v22 dst_sel:DWORD dst_unused:UNUSED_PAD src0_sel:WORD_0 src1_sel:DWORD
	s_waitcnt vmcnt(0) lgkmcnt(0)
	v_mul_lo_u16 v21, v42, 25
	s_barrier
	buffer_gl0_inv
	v_add_lshl_u32 v41, v19, v20, 3
	v_sub_nc_u16 v18, v18, v21
	v_and_b32_e32 v45, 0xff, v18
	v_lshlrev_b32_e32 v18, 5, v45
	v_mul_f32_e32 v19, v11, v5
	v_mul_f32_e32 v20, v10, v5
	;; [unrolled: 1-line block ×8, first 2 shown]
	v_fma_f32 v10, v10, v4, -v19
	v_fmac_f32_e32 v20, v11, v4
	v_fma_f32 v11, v12, v6, -v21
	v_fmac_f32_e32 v22, v13, v6
	;; [unrolled: 2-line block ×3, first 2 shown]
	v_fmac_f32_e32 v46, v17, v2
	v_fma_f32 v16, v16, v2, -v44
	v_add_f32_e32 v13, v8, v10
	v_add_f32_e32 v14, v11, v12
	;; [unrolled: 1-line block ×3, first 2 shown]
	v_sub_f32_e32 v15, v10, v11
	v_sub_f32_e32 v21, v16, v12
	v_add_f32_e32 v23, v10, v16
	v_add_f32_e32 v48, v9, v20
	;; [unrolled: 1-line block ×3, first 2 shown]
	v_sub_f32_e32 v17, v20, v46
	v_sub_f32_e32 v44, v11, v10
	;; [unrolled: 1-line block ×5, first 2 shown]
	v_add_f32_e32 v13, v13, v11
	v_fma_f32 v10, -0.5, v14, v8
	v_fma_f32 v11, -0.5, v49, v9
	v_sub_f32_e32 v19, v22, v43
	v_add_f32_e32 v21, v15, v21
	v_fma_f32 v8, -0.5, v23, v8
	v_add_f32_e32 v15, v48, v22
	v_fma_f32 v9, -0.5, v54, v9
	v_sub_f32_e32 v52, v20, v22
	v_sub_f32_e32 v53, v46, v43
	v_add_f32_e32 v23, v44, v47
	v_add_f32_e32 v44, v13, v12
	v_fmamk_f32 v12, v17, 0x3f737871, v10
	v_fmamk_f32 v13, v50, 0xbf737871, v11
	v_sub_f32_e32 v20, v22, v20
	v_sub_f32_e32 v55, v43, v46
	v_fmamk_f32 v14, v19, 0xbf737871, v8
	v_fmac_f32_e32 v8, 0x3f737871, v19
	v_add_f32_e32 v43, v15, v43
	v_fmamk_f32 v15, v51, 0x3f737871, v9
	v_fmac_f32_e32 v9, 0xbf737871, v51
	v_fmac_f32_e32 v10, 0xbf737871, v17
	v_fmac_f32_e32 v11, 0x3f737871, v50
	v_add_f32_e32 v22, v52, v53
	v_fmac_f32_e32 v12, 0x3f167918, v19
	v_fmac_f32_e32 v13, 0xbf167918, v51
	v_add_f32_e32 v20, v20, v55
	v_fmac_f32_e32 v14, 0x3f167918, v17
	v_fmac_f32_e32 v8, 0xbf167918, v17
	;; [unrolled: 1-line block ×6, first 2 shown]
	v_add_f32_e32 v16, v44, v16
	v_add_f32_e32 v17, v43, v46
	v_fmac_f32_e32 v12, 0x3e9e377a, v21
	v_fmac_f32_e32 v13, 0x3e9e377a, v22
	;; [unrolled: 1-line block ×8, first 2 shown]
	ds_write2_b64 v41, v[16:17], v[12:13] offset1:5
	ds_write2_b64 v41, v[14:15], v[8:9] offset0:10 offset1:15
	ds_write_b64 v41, v[10:11] offset:160
	s_waitcnt lgkmcnt(0)
	s_barrier
	buffer_gl0_inv
	s_clause 0x1
	global_load_dwordx4 v[12:15], v18, s[10:11] offset:160
	global_load_dwordx4 v[8:11], v18, s[10:11] offset:176
	ds_read2_b64 v[16:19], v36 offset1:125
	ds_read2_b64 v[20:23], v37 offset0:122 offset1:247
	ds_read_b64 v[43:44], v36 offset:4000
	v_mov_b32_e32 v46, 0x7d
	s_waitcnt vmcnt(0) lgkmcnt(0)
	s_barrier
	buffer_gl0_inv
	v_mul_u32_u24_sdwa v42, v42, v46 dst_sel:DWORD dst_unused:UNUSED_PAD src0_sel:WORD_0 src1_sel:DWORD
	v_lshlrev_b32_e32 v46, 5, v35
	v_add_lshl_u32 v42, v42, v45, 3
	v_mul_f32_e32 v47, v18, v13
	v_mul_f32_e32 v49, v20, v15
	;; [unrolled: 1-line block ×8, first 2 shown]
	v_fmac_f32_e32 v47, v19, v12
	v_fmac_f32_e32 v49, v21, v14
	;; [unrolled: 1-line block ×4, first 2 shown]
	v_fma_f32 v45, v18, v12, -v45
	v_fma_f32 v48, v20, v14, -v48
	;; [unrolled: 1-line block ×4, first 2 shown]
	v_add_f32_e32 v19, v49, v51
	v_add_f32_e32 v21, v47, v53
	v_add_f32_e32 v23, v16, v45
	v_add_f32_e32 v18, v48, v22
	v_add_f32_e32 v20, v45, v43
	v_fma_f32 v19, -0.5, v19, v17
	v_fma_f32 v21, -0.5, v21, v17
	v_add_f32_e32 v17, v17, v47
	v_sub_f32_e32 v44, v47, v53
	v_sub_f32_e32 v52, v45, v48
	;; [unrolled: 1-line block ×4, first 2 shown]
	v_fma_f32 v18, -0.5, v18, v16
	v_fma_f32 v20, -0.5, v20, v16
	v_sub_f32_e32 v16, v22, v43
	v_sub_f32_e32 v45, v45, v43
	v_add_f32_e32 v17, v17, v49
	v_sub_f32_e32 v50, v49, v51
	v_sub_f32_e32 v56, v48, v22
	;; [unrolled: 1-line block ×4, first 2 shown]
	v_add_f32_e32 v23, v23, v48
	v_sub_f32_e32 v48, v51, v53
	v_sub_f32_e32 v58, v53, v51
	v_add_f32_e32 v52, v52, v54
	v_add_f32_e32 v54, v55, v16
	v_fmamk_f32 v16, v44, 0x3f737871, v18
	v_add_f32_e32 v51, v17, v51
	v_fmamk_f32 v17, v45, 0xbf737871, v19
	v_add_f32_e32 v47, v47, v48
	v_add_f32_e32 v48, v23, v22
	v_fmamk_f32 v22, v50, 0xbf737871, v20
	v_fmac_f32_e32 v20, 0x3f737871, v50
	v_fmamk_f32 v23, v56, 0x3f737871, v21
	v_fmac_f32_e32 v21, 0xbf737871, v56
	v_fmac_f32_e32 v18, 0xbf737871, v44
	;; [unrolled: 1-line block ×3, first 2 shown]
	v_add_f32_e32 v49, v57, v58
	v_fmac_f32_e32 v16, 0x3f167918, v50
	v_fmac_f32_e32 v17, 0xbf167918, v56
	;; [unrolled: 1-line block ×8, first 2 shown]
	v_add_f32_e32 v43, v48, v43
	v_add_f32_e32 v44, v51, v53
	v_fmac_f32_e32 v16, 0x3e9e377a, v52
	v_fmac_f32_e32 v17, 0x3e9e377a, v49
	;; [unrolled: 1-line block ×8, first 2 shown]
	ds_write2_b64 v42, v[43:44], v[16:17] offset1:25
	ds_write2_b64 v42, v[22:23], v[20:21] offset0:50 offset1:75
	ds_write_b64 v42, v[18:19] offset:800
	s_waitcnt lgkmcnt(0)
	s_barrier
	buffer_gl0_inv
	s_clause 0x1
	global_load_dwordx4 v[20:23], v46, s[10:11] offset:960
	global_load_dwordx4 v[16:19], v46, s[10:11] offset:976
	ds_read2_b64 v[43:46], v36 offset1:125
	ds_read2_b64 v[47:50], v37 offset0:122 offset1:247
	ds_read_b64 v[51:52], v36 offset:4000
	s_waitcnt vmcnt(1) lgkmcnt(1)
	v_mul_f32_e32 v54, v48, v23
	v_mul_f32_e32 v53, v46, v21
	;; [unrolled: 1-line block ×3, first 2 shown]
	s_waitcnt vmcnt(0)
	v_mul_f32_e32 v56, v50, v17
	v_mul_f32_e32 v57, v49, v17
	v_fma_f32 v54, v47, v22, -v54
	s_waitcnt lgkmcnt(0)
	v_mul_f32_e32 v47, v52, v19
	v_fma_f32 v53, v45, v20, -v53
	v_fma_f32 v49, v49, v16, -v56
	v_fmac_f32_e32 v57, v50, v16
	v_mul_f32_e32 v50, v51, v19
	v_fma_f32 v51, v51, v18, -v47
	v_mul_f32_e32 v58, v45, v21
	v_fmac_f32_e32 v55, v48, v22
	v_add_f32_e32 v45, v54, v49
	v_fmac_f32_e32 v50, v52, v18
	v_sub_f32_e32 v52, v53, v54
	v_sub_f32_e32 v56, v51, v49
	v_fmac_f32_e32 v58, v46, v20
	v_sub_f32_e32 v59, v49, v51
	v_add_f32_e32 v46, v55, v57
	v_add_f32_e32 v47, v53, v51
	;; [unrolled: 1-line block ×3, first 2 shown]
	v_sub_f32_e32 v52, v54, v53
	v_add_f32_e32 v48, v58, v50
	v_sub_f32_e32 v60, v50, v57
	v_fma_f32 v45, -0.5, v45, v43
	v_fma_f32 v46, -0.5, v46, v44
	v_add_f32_e32 v59, v52, v59
	v_sub_f32_e32 v52, v58, v55
	v_fma_f32 v47, -0.5, v47, v43
	v_fma_f32 v48, -0.5, v48, v44
	v_add_f32_e32 v43, v43, v53
	v_add_f32_e32 v44, v44, v58
	;; [unrolled: 1-line block ×3, first 2 shown]
	v_sub_f32_e32 v52, v55, v58
	v_sub_f32_e32 v61, v57, v50
	v_add_f32_e32 v43, v43, v54
	v_add_f32_e32 v44, v44, v55
	v_sub_f32_e32 v54, v54, v49
	v_sub_f32_e32 v53, v53, v51
	v_add_f32_e32 v61, v52, v61
	v_sub_f32_e32 v52, v55, v57
	v_sub_f32_e32 v55, v58, v50
	v_add_f32_e32 v43, v43, v49
	v_add_f32_e32 v44, v44, v57
	v_fmamk_f32 v49, v55, 0x3f737871, v45
	v_fmac_f32_e32 v45, 0xbf737871, v55
	v_add_f32_e32 v43, v43, v51
	v_add_f32_e32 v44, v44, v50
	v_fmamk_f32 v51, v52, 0xbf737871, v47
	v_fmac_f32_e32 v47, 0x3f737871, v52
	v_fmac_f32_e32 v49, 0x3f167918, v52
	v_fmac_f32_e32 v45, 0xbf167918, v52
	v_fmamk_f32 v50, v53, 0xbf737871, v46
	v_fmamk_f32 v52, v54, 0x3f737871, v48
	v_fmac_f32_e32 v48, 0xbf737871, v54
	v_fmac_f32_e32 v46, 0x3f737871, v53
	;; [unrolled: 1-line block ×6, first 2 shown]
	v_add_co_u32 v53, vcc_lo, 0x1388, v38
	v_fmac_f32_e32 v47, 0xbf167918, v55
	v_fmac_f32_e32 v46, 0x3f167918, v54
	v_add_co_ci_u32_e32 v54, vcc_lo, 0, v39, vcc_lo
	v_add_co_u32 v55, vcc_lo, 0x1000, v38
	v_fmac_f32_e32 v49, 0x3e9e377a, v56
	v_fmac_f32_e32 v45, 0x3e9e377a, v56
	v_fmac_f32_e32 v50, 0x3e9e377a, v60
	v_add_co_ci_u32_e32 v56, vcc_lo, 0, v39, vcc_lo
	v_fmac_f32_e32 v51, 0x3e9e377a, v59
	v_fmac_f32_e32 v47, 0x3e9e377a, v59
	;; [unrolled: 1-line block ×5, first 2 shown]
	ds_write2_b64 v36, v[43:44], v[49:50] offset1:125
	ds_write2_b64 v37, v[51:52], v[47:48] offset0:122 offset1:247
	ds_write_b64 v36, v[45:46] offset:4000
	s_waitcnt lgkmcnt(0)
	s_barrier
	buffer_gl0_inv
	s_clause 0x1
	global_load_dwordx2 v[47:48], v[55:56], off offset:904
	global_load_dwordx2 v[49:50], v[53:54], off offset:1000
	v_add_co_u32 v43, vcc_lo, 0x1800, v38
	v_add_co_ci_u32_e32 v44, vcc_lo, 0, v39, vcc_lo
	v_add_co_u32 v38, vcc_lo, 0x2000, v38
	s_clause 0x1
	global_load_dwordx2 v[51:52], v[43:44], off offset:1856
	global_load_dwordx2 v[53:54], v[53:54], off offset:2000
	v_add_co_ci_u32_e32 v39, vcc_lo, 0, v39, vcc_lo
	ds_read2_b64 v[43:46], v36 offset1:125
	global_load_dwordx2 v[38:39], v[38:39], off offset:808
	s_waitcnt vmcnt(4) lgkmcnt(0)
	v_mul_f32_e32 v56, v43, v48
	v_mul_f32_e32 v55, v44, v48
	s_waitcnt vmcnt(3)
	v_mul_f32_e32 v48, v46, v50
	v_fmac_f32_e32 v56, v44, v47
	v_mul_f32_e32 v44, v45, v50
	v_fma_f32 v55, v43, v47, -v55
	v_fma_f32 v43, v45, v49, -v48
	v_fmac_f32_e32 v44, v46, v49
	ds_write2_b64 v36, v[55:56], v[43:44] offset1:125
	ds_read2_b64 v[43:46], v37 offset0:122 offset1:247
	ds_read_b64 v[47:48], v36 offset:4000
	s_waitcnt vmcnt(1) lgkmcnt(1)
	v_mul_f32_e32 v49, v44, v54
	v_mul_f32_e32 v50, v43, v54
	;; [unrolled: 1-line block ×4, first 2 shown]
	v_fma_f32 v49, v43, v53, -v49
	s_waitcnt vmcnt(0) lgkmcnt(0)
	v_mul_f32_e32 v43, v48, v39
	v_fmac_f32_e32 v50, v44, v53
	v_mul_f32_e32 v44, v47, v39
	v_fma_f32 v53, v45, v51, -v55
	v_fmac_f32_e32 v54, v46, v51
	v_fma_f32 v43, v47, v38, -v43
	v_fmac_f32_e32 v44, v48, v38
	ds_write2_b64 v37, v[49:50], v[53:54] offset0:122 offset1:247
	ds_write_b64 v36, v[43:44] offset:4000
	s_waitcnt lgkmcnt(0)
	s_barrier
	buffer_gl0_inv
	ds_read2_b64 v[43:46], v36 offset1:125
	ds_read2_b64 v[47:50], v37 offset0:122 offset1:247
	ds_read_b64 v[38:39], v36 offset:4000
	s_waitcnt lgkmcnt(0)
	s_barrier
	buffer_gl0_inv
	v_add_f32_e32 v55, v43, v45
	v_add_f32_e32 v52, v48, v50
	;; [unrolled: 1-line block ×6, first 2 shown]
	v_fma_f32 v52, -0.5, v52, v44
	v_fma_f32 v54, -0.5, v54, v44
	v_add_f32_e32 v44, v44, v46
	v_sub_f32_e32 v56, v46, v39
	v_sub_f32_e32 v57, v45, v47
	v_fma_f32 v51, -0.5, v51, v43
	v_fma_f32 v53, -0.5, v53, v43
	v_add_f32_e32 v44, v44, v48
	v_sub_f32_e32 v43, v47, v45
	v_sub_f32_e32 v58, v45, v38
	;; [unrolled: 1-line block ×4, first 2 shown]
	v_add_f32_e32 v44, v44, v50
	v_sub_f32_e32 v45, v46, v48
	v_sub_f32_e32 v46, v48, v46
	v_add_f32_e32 v55, v55, v49
	v_sub_f32_e32 v48, v48, v50
	v_sub_f32_e32 v47, v47, v49
	;; [unrolled: 1-line block ×4, first 2 shown]
	v_add_f32_e32 v57, v57, v59
	v_add_f32_e32 v59, v43, v60
	;; [unrolled: 1-line block ×3, first 2 shown]
	v_fmamk_f32 v43, v56, 0xbf737871, v51
	v_fmamk_f32 v44, v58, 0x3f737871, v52
	v_add_f32_e32 v49, v45, v49
	v_add_f32_e32 v50, v46, v50
	v_fmamk_f32 v45, v48, 0x3f737871, v53
	v_fmac_f32_e32 v53, 0xbf737871, v48
	v_fmamk_f32 v46, v47, 0xbf737871, v54
	v_fmac_f32_e32 v54, 0x3f737871, v47
	v_fmac_f32_e32 v51, 0x3f737871, v56
	;; [unrolled: 1-line block ×11, first 2 shown]
	v_add_f32_e32 v38, v55, v38
	v_fmac_f32_e32 v43, 0x3e9e377a, v57
	v_fmac_f32_e32 v44, 0x3e9e377a, v49
	;; [unrolled: 1-line block ×8, first 2 shown]
	ds_write2_b64 v40, v[38:39], v[43:44] offset1:1
	ds_write2_b64 v40, v[45:46], v[53:54] offset0:2 offset1:3
	ds_write_b64 v40, v[51:52] offset:32
	s_waitcnt lgkmcnt(0)
	s_barrier
	buffer_gl0_inv
	ds_read2_b64 v[43:46], v36 offset1:125
	ds_read2_b64 v[47:50], v37 offset0:122 offset1:247
	ds_read_b64 v[38:39], v36 offset:4000
	s_waitcnt lgkmcnt(0)
	s_barrier
	buffer_gl0_inv
	v_mul_f32_e32 v40, v5, v46
	v_mul_f32_e32 v5, v5, v45
	;; [unrolled: 1-line block ×8, first 2 shown]
	v_fmac_f32_e32 v40, v4, v45
	v_fma_f32 v4, v4, v46, -v5
	v_fmac_f32_e32 v51, v6, v47
	v_fma_f32 v5, v6, v48, -v7
	v_fmac_f32_e32 v52, v0, v49
	v_fma_f32 v7, v0, v50, -v1
	v_fma_f32 v39, v2, v39, -v3
	v_fmac_f32_e32 v53, v2, v38
	v_add_f32_e32 v0, v43, v40
	v_add_f32_e32 v1, v51, v52
	v_add_f32_e32 v48, v44, v4
	v_add_f32_e32 v49, v5, v7
	v_sub_f32_e32 v2, v40, v51
	v_sub_f32_e32 v3, v53, v52
	v_add_f32_e32 v6, v40, v53
	v_add_f32_e32 v56, v4, v39
	v_sub_f32_e32 v45, v4, v39
	v_sub_f32_e32 v46, v5, v7
	v_sub_f32_e32 v38, v51, v40
	v_sub_f32_e32 v40, v40, v53
	v_sub_f32_e32 v50, v51, v52
	v_sub_f32_e32 v54, v4, v5
	v_sub_f32_e32 v4, v5, v4
	v_add_f32_e32 v51, v0, v51
	v_sub_f32_e32 v57, v7, v39
	v_fma_f32 v0, -0.5, v1, v43
	v_add_f32_e32 v5, v48, v5
	v_fma_f32 v1, -0.5, v49, v44
	v_add_f32_e32 v58, v2, v3
	v_fma_f32 v2, -0.5, v6, v43
	v_fma_f32 v3, -0.5, v56, v44
	v_sub_f32_e32 v47, v52, v53
	v_sub_f32_e32 v55, v39, v7
	v_add_f32_e32 v44, v4, v57
	v_fmamk_f32 v4, v45, 0xbf737871, v0
	v_add_f32_e32 v48, v5, v7
	v_fmamk_f32 v5, v40, 0x3f737871, v1
	v_fmamk_f32 v6, v46, 0x3f737871, v2
	v_fmac_f32_e32 v2, 0xbf737871, v46
	v_fmamk_f32 v7, v50, 0xbf737871, v3
	v_fmac_f32_e32 v3, 0x3f737871, v50
	v_fmac_f32_e32 v0, 0x3f737871, v45
	;; [unrolled: 1-line block ×3, first 2 shown]
	v_add_f32_e32 v47, v38, v47
	v_add_f32_e32 v43, v54, v55
	;; [unrolled: 1-line block ×3, first 2 shown]
	v_fmac_f32_e32 v4, 0xbf167918, v46
	v_fmac_f32_e32 v5, 0x3f167918, v50
	;; [unrolled: 1-line block ×8, first 2 shown]
	v_add_f32_e32 v38, v38, v53
	v_add_f32_e32 v39, v48, v39
	v_fmac_f32_e32 v4, 0x3e9e377a, v58
	v_fmac_f32_e32 v5, 0x3e9e377a, v43
	;; [unrolled: 1-line block ×8, first 2 shown]
	ds_write2_b64 v41, v[38:39], v[4:5] offset1:5
	ds_write2_b64 v41, v[6:7], v[2:3] offset0:10 offset1:15
	ds_write_b64 v41, v[0:1] offset:160
	s_waitcnt lgkmcnt(0)
	s_barrier
	buffer_gl0_inv
	ds_read2_b64 v[0:3], v36 offset1:125
	ds_read2_b64 v[4:7], v37 offset0:122 offset1:247
	ds_read_b64 v[38:39], v36 offset:4000
	s_waitcnt lgkmcnt(0)
	s_barrier
	buffer_gl0_inv
	v_mul_f32_e32 v40, v13, v3
	v_mul_f32_e32 v13, v13, v2
	;; [unrolled: 1-line block ×8, first 2 shown]
	v_fmac_f32_e32 v40, v12, v2
	v_fma_f32 v2, v12, v3, -v13
	v_fmac_f32_e32 v41, v14, v4
	v_fma_f32 v3, v14, v5, -v15
	;; [unrolled: 2-line block ×4, first 2 shown]
	v_add_f32_e32 v4, v0, v40
	v_add_f32_e32 v6, v41, v43
	v_sub_f32_e32 v7, v40, v41
	v_sub_f32_e32 v8, v44, v43
	v_add_f32_e32 v15, v1, v2
	v_add_f32_e32 v38, v3, v5
	;; [unrolled: 1-line block ×4, first 2 shown]
	v_sub_f32_e32 v9, v2, v11
	v_sub_f32_e32 v10, v3, v5
	;; [unrolled: 1-line block ×7, first 2 shown]
	v_add_f32_e32 v4, v4, v41
	v_fma_f32 v2, -0.5, v6, v0
	v_add_f32_e32 v41, v7, v8
	v_add_f32_e32 v7, v15, v3
	v_fma_f32 v3, -0.5, v38, v1
	v_fma_f32 v0, -0.5, v12, v0
	;; [unrolled: 1-line block ×3, first 2 shown]
	v_sub_f32_e32 v14, v43, v44
	v_sub_f32_e32 v46, v11, v5
	;; [unrolled: 1-line block ×3, first 2 shown]
	v_add_f32_e32 v8, v4, v43
	v_fmamk_f32 v4, v9, 0xbf737871, v2
	v_add_f32_e32 v15, v7, v5
	v_fmamk_f32 v5, v39, 0x3f737871, v3
	v_fmamk_f32 v6, v10, 0x3f737871, v0
	v_fmac_f32_e32 v0, 0xbf737871, v10
	v_fmamk_f32 v7, v40, 0xbf737871, v1
	v_fmac_f32_e32 v1, 0x3f737871, v40
	v_fmac_f32_e32 v2, 0x3f737871, v9
	;; [unrolled: 1-line block ×3, first 2 shown]
	v_add_f32_e32 v12, v13, v14
	v_add_f32_e32 v13, v45, v46
	v_fmac_f32_e32 v4, 0xbf167918, v10
	v_fmac_f32_e32 v5, 0x3f167918, v40
	v_add_f32_e32 v14, v48, v49
	v_fmac_f32_e32 v6, 0xbf167918, v9
	v_fmac_f32_e32 v0, 0x3f167918, v9
	;; [unrolled: 1-line block ×6, first 2 shown]
	v_add_f32_e32 v8, v8, v44
	v_add_f32_e32 v9, v15, v11
	v_fmac_f32_e32 v4, 0x3e9e377a, v41
	v_fmac_f32_e32 v5, 0x3e9e377a, v13
	v_fmac_f32_e32 v6, 0x3e9e377a, v12
	v_fmac_f32_e32 v0, 0x3e9e377a, v12
	v_fmac_f32_e32 v7, 0x3e9e377a, v14
	v_fmac_f32_e32 v1, 0x3e9e377a, v14
	v_fmac_f32_e32 v2, 0x3e9e377a, v41
	v_fmac_f32_e32 v3, 0x3e9e377a, v13
	ds_write2_b64 v42, v[8:9], v[4:5] offset1:25
	ds_write2_b64 v42, v[6:7], v[0:1] offset0:50 offset1:75
	ds_write_b64 v42, v[2:3] offset:800
	s_waitcnt lgkmcnt(0)
	s_barrier
	buffer_gl0_inv
	ds_read2_b64 v[0:3], v36 offset1:125
	ds_read2_b64 v[4:7], v37 offset0:122 offset1:247
	ds_read_b64 v[8:9], v36 offset:4000
	s_waitcnt lgkmcnt(2)
	v_mul_f32_e32 v10, v21, v3
	v_mul_f32_e32 v11, v21, v2
	s_waitcnt lgkmcnt(1)
	v_mul_f32_e32 v12, v23, v5
	v_mul_f32_e32 v13, v23, v4
	;; [unrolled: 1-line block ×4, first 2 shown]
	s_waitcnt lgkmcnt(0)
	v_mul_f32_e32 v17, v19, v9
	v_mul_f32_e32 v19, v19, v8
	v_fmac_f32_e32 v10, v20, v2
	v_fma_f32 v2, v20, v3, -v11
	v_fmac_f32_e32 v12, v22, v4
	v_fma_f32 v3, v22, v5, -v13
	;; [unrolled: 2-line block ×4, first 2 shown]
	v_add_f32_e32 v4, v0, v10
	v_add_f32_e32 v6, v12, v14
	v_sub_f32_e32 v7, v10, v12
	v_sub_f32_e32 v8, v17, v14
	v_add_f32_e32 v19, v1, v2
	v_add_f32_e32 v20, v3, v5
	;; [unrolled: 1-line block ×4, first 2 shown]
	v_sub_f32_e32 v11, v2, v9
	v_sub_f32_e32 v13, v3, v5
	;; [unrolled: 1-line block ×7, first 2 shown]
	v_add_f32_e32 v4, v4, v12
	v_fma_f32 v2, -0.5, v6, v0
	v_add_f32_e32 v12, v7, v8
	v_add_f32_e32 v7, v19, v3
	v_fma_f32 v3, -0.5, v20, v1
	v_fma_f32 v0, -0.5, v15, v0
	v_fma_f32 v1, -0.5, v38, v1
	v_sub_f32_e32 v18, v14, v17
	v_sub_f32_e32 v23, v9, v5
	;; [unrolled: 1-line block ×3, first 2 shown]
	v_add_f32_e32 v8, v4, v14
	v_fmamk_f32 v4, v11, 0xbf737871, v2
	v_add_f32_e32 v14, v7, v5
	v_fmamk_f32 v5, v10, 0x3f737871, v3
	v_fmamk_f32 v6, v13, 0x3f737871, v0
	v_fmac_f32_e32 v0, 0xbf737871, v13
	v_fmamk_f32 v7, v21, 0xbf737871, v1
	v_fmac_f32_e32 v1, 0x3f737871, v21
	v_fmac_f32_e32 v2, 0x3f737871, v11
	;; [unrolled: 1-line block ×3, first 2 shown]
	v_add_f32_e32 v15, v16, v18
	v_add_f32_e32 v16, v22, v23
	v_fmac_f32_e32 v4, 0xbf167918, v13
	v_fmac_f32_e32 v5, 0x3f167918, v21
	v_add_f32_e32 v18, v39, v40
	v_fmac_f32_e32 v6, 0xbf167918, v11
	v_fmac_f32_e32 v0, 0x3f167918, v11
	;; [unrolled: 1-line block ×6, first 2 shown]
	v_add_f32_e32 v8, v8, v17
	v_add_f32_e32 v9, v14, v9
	v_fmac_f32_e32 v4, 0x3e9e377a, v12
	v_fmac_f32_e32 v5, 0x3e9e377a, v16
	;; [unrolled: 1-line block ×8, first 2 shown]
	ds_write2_b64 v36, v[8:9], v[4:5] offset1:125
	ds_write2_b64 v37, v[6:7], v[0:1] offset0:122 offset1:247
	ds_write_b64 v36, v[2:3] offset:4000
	s_waitcnt lgkmcnt(0)
	s_barrier
	buffer_gl0_inv
	ds_read2_b64 v[0:3], v36 offset1:125
	ds_read2_b64 v[4:7], v37 offset0:122 offset1:247
	ds_read_b64 v[10:11], v36 offset:4000
	v_mad_u64_u32 v[8:9], null, s2, v24, 0
	v_mad_u64_u32 v[12:13], null, s0, v35, 0
	s_waitcnt lgkmcnt(2)
	v_mul_f32_e32 v16, v28, v3
	v_mul_f32_e32 v17, v28, v2
	s_waitcnt lgkmcnt(0)
	v_mad_u64_u32 v[14:15], null, s3, v24, v[9:10]
	v_mul_f32_e32 v9, v26, v1
	v_mul_f32_e32 v15, v26, v0
	;; [unrolled: 1-line block ×8, first 2 shown]
	v_fmac_f32_e32 v9, v25, v0
	v_fma_f32 v15, v25, v1, -v15
	v_fmac_f32_e32 v16, v27, v2
	v_fma_f32 v17, v27, v3, -v17
	v_fmac_f32_e32 v18, v29, v4
	v_fma_f32 v19, v29, v5, -v19
	v_fmac_f32_e32 v20, v31, v6
	v_fma_f32 v21, v31, v7, -v21
	v_fmac_f32_e32 v22, v33, v10
	v_fma_f32 v23, v33, v11, -v23
	v_cvt_f64_f32_e32 v[0:1], v9
	v_cvt_f64_f32_e32 v[2:3], v15
	;; [unrolled: 1-line block ×10, first 2 shown]
	s_load_dwordx2 s[2:3], s[4:5], 0x38
	s_mov_b32 s4, 0xeb1c432d
	s_mov_b32 s5, 0x3f5a36e2
	v_mad_u64_u32 v[25:26], null, s1, v35, v[13:14]
	v_mov_b32_e32 v9, v14
	s_mulk_i32 s1, 0x3e8
	v_lshlrev_b64 v[8:9], 3, v[8:9]
	v_mov_b32_e32 v13, v25
	v_mul_f64 v[0:1], v[0:1], s[4:5]
	v_mul_f64 v[2:3], v[2:3], s[4:5]
	;; [unrolled: 1-line block ×10, first 2 shown]
	v_lshlrev_b64 v[12:13], 3, v[12:13]
	s_waitcnt lgkmcnt(0)
	v_add_co_u32 v8, vcc_lo, s2, v8
	v_add_co_ci_u32_e32 v9, vcc_lo, s3, v9, vcc_lo
	s_mul_hi_u32 s4, s0, 0x3e8
	v_add_co_u32 v8, vcc_lo, v8, v12
	v_add_co_ci_u32_e32 v9, vcc_lo, v9, v13, vcc_lo
	s_mulk_i32 s0, 0x3e8
	s_add_i32 s4, s4, s1
	v_cvt_f32_f64_e32 v0, v[0:1]
	v_cvt_f32_f64_e32 v1, v[2:3]
	;; [unrolled: 1-line block ×10, first 2 shown]
	v_add_co_u32 v12, vcc_lo, v8, s0
	v_add_co_ci_u32_e32 v13, vcc_lo, s4, v9, vcc_lo
	v_add_co_u32 v14, vcc_lo, v12, s0
	v_add_co_ci_u32_e32 v15, vcc_lo, s4, v13, vcc_lo
	;; [unrolled: 2-line block ×4, first 2 shown]
	global_store_dwordx2 v[8:9], v[0:1], off
	global_store_dwordx2 v[12:13], v[2:3], off
	;; [unrolled: 1-line block ×5, first 2 shown]
.LBB0_2:
	s_endpgm
	.section	.rodata,"a",@progbits
	.p2align	6, 0x0
	.amdhsa_kernel bluestein_single_back_len625_dim1_sp_op_CI_CI
		.amdhsa_group_segment_fixed_size 5000
		.amdhsa_private_segment_fixed_size 0
		.amdhsa_kernarg_size 104
		.amdhsa_user_sgpr_count 6
		.amdhsa_user_sgpr_private_segment_buffer 1
		.amdhsa_user_sgpr_dispatch_ptr 0
		.amdhsa_user_sgpr_queue_ptr 0
		.amdhsa_user_sgpr_kernarg_segment_ptr 1
		.amdhsa_user_sgpr_dispatch_id 0
		.amdhsa_user_sgpr_flat_scratch_init 0
		.amdhsa_user_sgpr_private_segment_size 0
		.amdhsa_wavefront_size32 1
		.amdhsa_uses_dynamic_stack 0
		.amdhsa_system_sgpr_private_segment_wavefront_offset 0
		.amdhsa_system_sgpr_workgroup_id_x 1
		.amdhsa_system_sgpr_workgroup_id_y 0
		.amdhsa_system_sgpr_workgroup_id_z 0
		.amdhsa_system_sgpr_workgroup_info 0
		.amdhsa_system_vgpr_workitem_id 0
		.amdhsa_next_free_vgpr 62
		.amdhsa_next_free_sgpr 20
		.amdhsa_reserve_vcc 1
		.amdhsa_reserve_flat_scratch 0
		.amdhsa_float_round_mode_32 0
		.amdhsa_float_round_mode_16_64 0
		.amdhsa_float_denorm_mode_32 3
		.amdhsa_float_denorm_mode_16_64 3
		.amdhsa_dx10_clamp 1
		.amdhsa_ieee_mode 1
		.amdhsa_fp16_overflow 0
		.amdhsa_workgroup_processor_mode 1
		.amdhsa_memory_ordered 1
		.amdhsa_forward_progress 0
		.amdhsa_shared_vgpr_count 0
		.amdhsa_exception_fp_ieee_invalid_op 0
		.amdhsa_exception_fp_denorm_src 0
		.amdhsa_exception_fp_ieee_div_zero 0
		.amdhsa_exception_fp_ieee_overflow 0
		.amdhsa_exception_fp_ieee_underflow 0
		.amdhsa_exception_fp_ieee_inexact 0
		.amdhsa_exception_int_div_zero 0
	.end_amdhsa_kernel
	.text
.Lfunc_end0:
	.size	bluestein_single_back_len625_dim1_sp_op_CI_CI, .Lfunc_end0-bluestein_single_back_len625_dim1_sp_op_CI_CI
                                        ; -- End function
	.section	.AMDGPU.csdata,"",@progbits
; Kernel info:
; codeLenInByte = 5400
; NumSgprs: 22
; NumVgprs: 62
; ScratchSize: 0
; MemoryBound: 0
; FloatMode: 240
; IeeeMode: 1
; LDSByteSize: 5000 bytes/workgroup (compile time only)
; SGPRBlocks: 2
; VGPRBlocks: 7
; NumSGPRsForWavesPerEU: 22
; NumVGPRsForWavesPerEU: 62
; Occupancy: 16
; WaveLimiterHint : 1
; COMPUTE_PGM_RSRC2:SCRATCH_EN: 0
; COMPUTE_PGM_RSRC2:USER_SGPR: 6
; COMPUTE_PGM_RSRC2:TRAP_HANDLER: 0
; COMPUTE_PGM_RSRC2:TGID_X_EN: 1
; COMPUTE_PGM_RSRC2:TGID_Y_EN: 0
; COMPUTE_PGM_RSRC2:TGID_Z_EN: 0
; COMPUTE_PGM_RSRC2:TIDIG_COMP_CNT: 0
	.text
	.p2alignl 6, 3214868480
	.fill 48, 4, 3214868480
	.type	__hip_cuid_b6371528b37fe1db,@object ; @__hip_cuid_b6371528b37fe1db
	.section	.bss,"aw",@nobits
	.globl	__hip_cuid_b6371528b37fe1db
__hip_cuid_b6371528b37fe1db:
	.byte	0                               ; 0x0
	.size	__hip_cuid_b6371528b37fe1db, 1

	.ident	"AMD clang version 19.0.0git (https://github.com/RadeonOpenCompute/llvm-project roc-6.4.0 25133 c7fe45cf4b819c5991fe208aaa96edf142730f1d)"
	.section	".note.GNU-stack","",@progbits
	.addrsig
	.addrsig_sym __hip_cuid_b6371528b37fe1db
	.amdgpu_metadata
---
amdhsa.kernels:
  - .args:
      - .actual_access:  read_only
        .address_space:  global
        .offset:         0
        .size:           8
        .value_kind:     global_buffer
      - .actual_access:  read_only
        .address_space:  global
        .offset:         8
        .size:           8
        .value_kind:     global_buffer
      - .actual_access:  read_only
        .address_space:  global
        .offset:         16
        .size:           8
        .value_kind:     global_buffer
      - .actual_access:  read_only
        .address_space:  global
        .offset:         24
        .size:           8
        .value_kind:     global_buffer
      - .actual_access:  read_only
        .address_space:  global
        .offset:         32
        .size:           8
        .value_kind:     global_buffer
      - .offset:         40
        .size:           8
        .value_kind:     by_value
      - .address_space:  global
        .offset:         48
        .size:           8
        .value_kind:     global_buffer
      - .address_space:  global
        .offset:         56
        .size:           8
        .value_kind:     global_buffer
      - .address_space:  global
        .offset:         64
        .size:           8
        .value_kind:     global_buffer
      - .address_space:  global
        .offset:         72
        .size:           8
        .value_kind:     global_buffer
      - .offset:         80
        .size:           4
        .value_kind:     by_value
      - .address_space:  global
        .offset:         88
        .size:           8
        .value_kind:     global_buffer
      - .address_space:  global
        .offset:         96
        .size:           8
        .value_kind:     global_buffer
    .group_segment_fixed_size: 5000
    .kernarg_segment_align: 8
    .kernarg_segment_size: 104
    .language:       OpenCL C
    .language_version:
      - 2
      - 0
    .max_flat_workgroup_size: 125
    .name:           bluestein_single_back_len625_dim1_sp_op_CI_CI
    .private_segment_fixed_size: 0
    .sgpr_count:     22
    .sgpr_spill_count: 0
    .symbol:         bluestein_single_back_len625_dim1_sp_op_CI_CI.kd
    .uniform_work_group_size: 1
    .uses_dynamic_stack: false
    .vgpr_count:     62
    .vgpr_spill_count: 0
    .wavefront_size: 32
    .workgroup_processor_mode: 1
amdhsa.target:   amdgcn-amd-amdhsa--gfx1030
amdhsa.version:
  - 1
  - 2
...

	.end_amdgpu_metadata
